;; amdgpu-corpus repo=ROCm/rocFFT kind=compiled arch=gfx906 opt=O3
	.text
	.amdgcn_target "amdgcn-amd-amdhsa--gfx906"
	.amdhsa_code_object_version 6
	.protected	fft_rtc_back_len49_factors_7_7_wgs_196_tpt_7_dp_op_CI_CI_sbrc_erc_z_xy_unaligned_dirReg ; -- Begin function fft_rtc_back_len49_factors_7_7_wgs_196_tpt_7_dp_op_CI_CI_sbrc_erc_z_xy_unaligned_dirReg
	.globl	fft_rtc_back_len49_factors_7_7_wgs_196_tpt_7_dp_op_CI_CI_sbrc_erc_z_xy_unaligned_dirReg
	.p2align	8
	.type	fft_rtc_back_len49_factors_7_7_wgs_196_tpt_7_dp_op_CI_CI_sbrc_erc_z_xy_unaligned_dirReg,@function
fft_rtc_back_len49_factors_7_7_wgs_196_tpt_7_dp_op_CI_CI_sbrc_erc_z_xy_unaligned_dirReg: ; @fft_rtc_back_len49_factors_7_7_wgs_196_tpt_7_dp_op_CI_CI_sbrc_erc_z_xy_unaligned_dirReg
; %bb.0:
	s_load_dwordx8 s[8:15], s[4:5], 0x0
	s_waitcnt lgkmcnt(0)
	s_load_dwordx4 s[0:3], s[12:13], 0x8
	s_load_dwordx2 s[24:25], s[4:5], 0x20
	s_load_dwordx4 s[16:19], s[14:15], 0x0
	s_load_dword s7, s[14:15], 0x10
	s_waitcnt lgkmcnt(0)
	s_add_i32 s1, s0, -1
	s_lshr_b32 s1, s1, 2
	s_mul_hi_u32 s1, s1, 0x24924925
	s_add_i32 s3, s1, 1
	s_mul_i32 s2, s3, s2
	v_cvt_f32_u32_e32 v2, s2
	v_cvt_f32_u32_e32 v1, s3
	s_sub_i32 s12, 0, s2
	v_rcp_iflag_f32_e32 v2, v2
	v_rcp_iflag_f32_e32 v1, v1
	v_mul_f32_e32 v2, 0x4f7ffffe, v2
	v_cvt_u32_f32_e32 v2, v2
	v_mul_f32_e32 v1, 0x4f7ffffe, v1
	v_cvt_u32_f32_e32 v1, v1
	v_readfirstlane_b32 s19, v2
	s_mul_i32 s12, s12, s19
	s_mul_hi_u32 s12, s19, s12
	s_add_i32 s19, s19, s12
	s_mul_hi_u32 s12, s6, s19
	s_mul_i32 s19, s12, s2
	s_sub_i32 s19, s6, s19
	s_add_i32 s20, s12, 1
	s_sub_i32 s21, s19, s2
	s_cmp_ge_u32 s19, s2
	s_cselect_b32 s12, s20, s12
	s_cselect_b32 s19, s21, s19
	s_add_i32 s20, s12, 1
	s_cmp_ge_u32 s19, s2
	v_readfirstlane_b32 s13, v1
	s_cselect_b32 s33, s20, s12
	s_not_b32 s1, s1
	s_mul_i32 s1, s1, s13
	s_mul_i32 s2, s33, s2
	s_mul_hi_u32 s1, s13, s1
	s_sub_i32 s2, s6, s2
	s_add_i32 s13, s13, s1
	s_mul_hi_u32 s1, s2, s13
	s_mul_i32 s12, s1, s3
	s_sub_i32 s2, s2, s12
	s_add_i32 s19, s1, 1
	s_sub_i32 s12, s2, s3
	s_cmp_ge_u32 s2, s3
	s_cselect_b32 s1, s19, s1
	s_cselect_b32 s2, s12, s2
	s_add_i32 s12, s1, 1
	s_cmp_ge_u32 s2, s3
	s_cselect_b32 s38, s12, s1
	s_mul_hi_u32 s1, s6, s13
	s_mul_i32 s1, s1, s3
	s_sub_i32 s1, s6, s1
	s_sub_i32 s2, s1, s3
	s_cmp_ge_u32 s1, s3
	s_cselect_b32 s1, s2, s1
	s_sub_i32 s2, s1, s3
	s_cmp_ge_u32 s1, s3
	s_cselect_b32 s1, s2, s1
	s_mul_i32 s1, s1, 28
	s_mul_i32 s2, s38, s7
	;; [unrolled: 1-line block ×3, first 2 shown]
	s_add_i32 s19, s3, s2
	s_lshl_b64 s[6:7], s[10:11], 3
	s_add_u32 s10, s14, s6
	s_addc_u32 s11, s15, s7
	s_load_dwordx2 s[22:23], s[10:11], 0x0
	s_load_dwordx2 s[20:21], s[4:5], 0x58
	s_load_dwordx4 s[12:15], s[24:25], 0x0
	s_load_dwordx2 s[2:3], s[24:25], 0x10
	v_mul_u32_u24_e32 v1, 0x53a, v0
	s_waitcnt lgkmcnt(0)
	s_mul_i32 s3, s23, s33
	s_mul_hi_u32 s10, s22, s33
	s_add_i32 s10, s10, s3
	s_mul_i32 s3, s22, s33
	s_add_u32 s22, s3, s19
	s_addc_u32 s23, s10, 0
	s_add_u32 s6, s24, s6
	s_addc_u32 s7, s25, s7
	s_load_dwordx2 s[10:11], s[6:7], 0x0
	s_add_i32 s3, s1, 28
	s_cmp_le_u32 s3, s0
	v_lshrrev_b32_e32 v1, 16, v1
	s_cselect_b64 s[6:7], -1, 0
	v_mul_lo_u16_e32 v2, 49, v1
	v_sub_u16_e32 v2, v0, v2
	s_mov_b64 s[24:25], -1
	s_and_b64 vcc, exec, s[6:7]
	s_cbranch_vccz .LBB0_2
; %bb.1:
	v_mad_u64_u32 v[3:4], s[24:25], s16, v2, 0
	v_mul_lo_u32 v11, s18, v1
	v_mov_b32_e32 v12, 0
	v_mad_u64_u32 v[4:5], s[24:25], s17, v2, v[4:5]
	s_lshl_b64 s[24:25], s[22:23], 4
	s_add_u32 s3, s20, s24
	v_lshlrev_b64 v[3:4], 4, v[3:4]
	s_addc_u32 s15, s21, s25
	v_mov_b32_e32 v5, s15
	v_add_co_u32_e32 v25, vcc, s3, v3
	v_addc_co_u32_e32 v26, vcc, v5, v4, vcc
	v_lshlrev_b64 v[3:4], 4, v[11:12]
	s_lshl_b32 s3, s18, 2
	v_add_co_u32_e32 v13, vcc, v25, v3
	v_add_u32_e32 v11, s3, v11
	v_addc_co_u32_e32 v14, vcc, v26, v4, vcc
	v_lshlrev_b64 v[3:4], 4, v[11:12]
	v_add_u32_e32 v11, s3, v11
	v_add_co_u32_e32 v15, vcc, v25, v3
	v_addc_co_u32_e32 v16, vcc, v26, v4, vcc
	global_load_dwordx4 v[3:6], v[13:14], off
	global_load_dwordx4 v[7:10], v[15:16], off
	v_lshlrev_b64 v[13:14], 4, v[11:12]
	v_add_u32_e32 v11, s3, v11
	v_add_co_u32_e32 v19, vcc, v25, v13
	v_addc_co_u32_e32 v20, vcc, v26, v14, vcc
	v_lshlrev_b64 v[13:14], 4, v[11:12]
	v_add_u32_e32 v11, s3, v11
	v_lshlrev_b64 v[15:16], 4, v[11:12]
	v_add_co_u32_e32 v23, vcc, v25, v13
	v_add_u32_e32 v11, s3, v11
	v_addc_co_u32_e32 v24, vcc, v26, v14, vcc
	v_lshlrev_b64 v[17:18], 4, v[11:12]
	v_add_co_u32_e32 v31, vcc, v25, v15
	v_add_u32_e32 v11, s3, v11
	v_addc_co_u32_e32 v32, vcc, v26, v16, vcc
	v_lshlrev_b64 v[21:22], 4, v[11:12]
	v_add_co_u32_e32 v33, vcc, v25, v17
	v_addc_co_u32_e32 v34, vcc, v26, v18, vcc
	v_add_co_u32_e32 v35, vcc, v25, v21
	global_load_dwordx4 v[11:14], v[19:20], off
	global_load_dwordx4 v[15:18], v[23:24], off
	v_addc_co_u32_e32 v36, vcc, v26, v22, vcc
	global_load_dwordx4 v[19:22], v[31:32], off
	global_load_dwordx4 v[23:26], v[33:34], off
	;; [unrolled: 1-line block ×3, first 2 shown]
	v_mul_u32_u24_e32 v31, 0x320, v1
	v_lshlrev_b32_e32 v32, 4, v2
	v_add3_u32 v31, 0, v31, v32
	v_add_u32_e32 v32, 0x3000, v31
	v_add_u32_e32 v33, 0x3800, v31
	;; [unrolled: 1-line block ×3, first 2 shown]
	s_mov_b64 s[24:25], 0
	s_waitcnt vmcnt(6)
	ds_write_b128 v31, v[3:6]
	s_waitcnt vmcnt(5)
	ds_write_b128 v31, v[7:10] offset:3200
	s_waitcnt vmcnt(4)
	ds_write_b128 v31, v[11:14] offset:6400
	;; [unrolled: 2-line block ×3, first 2 shown]
	s_waitcnt vmcnt(2)
	ds_write2_b64 v32, v[19:20], v[21:22] offset0:64 offset1:65
	s_waitcnt vmcnt(1)
	ds_write2_b64 v33, v[23:24], v[25:26] offset0:208 offset1:209
	;; [unrolled: 2-line block ×3, first 2 shown]
.LBB0_2:
	s_load_dwordx2 s[4:5], s[4:5], 0x60
	s_andn2_b64 vcc, exec, s[24:25]
	s_cbranch_vccnz .LBB0_7
; %bb.3:
	v_add_u32_e32 v3, s1, v1
	v_cmp_gt_u32_e32 vcc, s0, v3
	s_and_saveexec_b64 s[24:25], vcc
	s_cbranch_execz .LBB0_6
; %bb.4:
	v_mad_u64_u32 v[4:5], s[26:27], s16, v2, 0
	s_lshl_b64 s[22:23], s[22:23], 4
	s_add_u32 s3, s20, s22
	v_mad_u64_u32 v[5:6], s[16:17], s17, v2, v[5:6]
	s_addc_u32 s15, s21, s23
	v_mov_b32_e32 v6, s15
	v_lshlrev_b64 v[4:5], 4, v[4:5]
	v_lshlrev_b32_e32 v2, 4, v2
	v_add_co_u32_e32 v4, vcc, s3, v4
	v_addc_co_u32_e32 v5, vcc, v6, v5, vcc
	v_mul_u32_u24_e32 v6, 0x320, v1
	v_mul_lo_u32 v1, v1, s18
	v_add3_u32 v6, v6, v2, 0
	s_lshl_b32 s3, s18, 2
	s_mov_b64 s[16:17], 0
	v_mov_b32_e32 v2, 0
.LBB0_5:                                ; =>This Inner Loop Header: Depth=1
	v_lshlrev_b64 v[7:8], 4, v[1:2]
	v_add_u32_e32 v3, 4, v3
	v_add_co_u32_e32 v7, vcc, v4, v7
	v_addc_co_u32_e32 v8, vcc, v5, v8, vcc
	global_load_dwordx4 v[7:10], v[7:8], off
	v_cmp_le_u32_e32 vcc, s0, v3
	v_add_u32_e32 v1, s3, v1
	s_or_b64 s[16:17], vcc, s[16:17]
	s_waitcnt vmcnt(0)
	ds_write_b128 v6, v[7:10]
	v_add_u32_e32 v6, 0xc80, v6
	s_andn2_b64 exec, exec, s[16:17]
	s_cbranch_execnz .LBB0_5
.LBB0_6:
	s_or_b64 exec, exec, s[24:25]
.LBB0_7:
	s_movk_i32 s3, 0x2493
	v_mul_u32_u24_sdwa v1, v0, s3 dst_sel:DWORD dst_unused:UNUSED_PAD src0_sel:WORD_0 src1_sel:DWORD
	v_add_u32_sdwa v1, s1, v1 dst_sel:DWORD dst_unused:UNUSED_PAD src0_sel:DWORD src1_sel:WORD_1
	v_lshrrev_b32_e32 v2, 2, v1
	s_mov_b32 s3, 0x24924925
	v_mul_hi_u32 v2, v2, s3
	v_mul_hi_u32 v3, v0, s3
	s_waitcnt lgkmcnt(0)
	s_barrier
	v_mul_lo_u32 v2, v2, 28
	v_mul_u32_u24_e32 v3, 7, v3
	v_sub_u32_e32 v43, v0, v3
	v_lshlrev_b32_e32 v15, 4, v43
	v_sub_u32_e32 v1, v1, v2
	v_mul_u32_u24_e32 v1, 50, v1
	v_lshlrev_b32_e32 v2, 4, v1
	v_add3_u32 v1, 0, v15, v2
	v_add3_u32 v2, 0, v2, v15
	ds_read_b128 v[3:6], v1 offset:672
	ds_read_b128 v[7:10], v1 offset:112
	;; [unrolled: 1-line block ×3, first 2 shown]
	ds_read_b128 v[15:18], v2
	ds_read_b128 v[19:22], v1 offset:224
	ds_read_b128 v[23:26], v1 offset:336
	;; [unrolled: 1-line block ×3, first 2 shown]
	s_mov_b32 s16, 0x36b3c0b5
	s_waitcnt lgkmcnt(5)
	v_add_f64 v[31:32], v[7:8], v[3:4]
	v_add_f64 v[33:34], v[9:10], v[5:6]
	s_waitcnt lgkmcnt(2)
	v_add_f64 v[35:36], v[19:20], v[11:12]
	v_add_f64 v[37:38], v[21:22], v[13:14]
	v_add_f64 v[7:8], v[7:8], -v[3:4]
	v_add_f64 v[9:10], v[9:10], -v[5:6]
	;; [unrolled: 1-line block ×4, first 2 shown]
	s_waitcnt lgkmcnt(0)
	v_add_f64 v[19:20], v[23:24], v[27:28]
	v_add_f64 v[21:22], v[25:26], v[29:30]
	;; [unrolled: 1-line block ×4, first 2 shown]
	v_add_f64 v[23:24], v[27:28], -v[23:24]
	v_add_f64 v[25:26], v[29:30], -v[25:26]
	s_mov_b32 s17, 0x3fac98ee
	v_add_f64 v[27:28], v[35:36], -v[31:32]
	v_add_f64 v[29:30], v[19:20], -v[35:36]
	s_mov_b32 s22, 0x37e14327
	v_add_f64 v[39:40], v[19:20], v[3:4]
	v_add_f64 v[41:42], v[21:22], v[5:6]
	s_mov_b32 s18, 0x5476071b
	v_add_f64 v[35:36], v[25:26], v[13:14]
	s_mov_b32 s23, 0x3fe948f6
	s_mov_b32 s19, 0x3fe77f67
	;; [unrolled: 1-line block ×4, first 2 shown]
	v_add_f64 v[3:4], v[15:16], v[39:40]
	v_add_f64 v[5:6], v[17:18], v[41:42]
	v_add_f64 v[15:16], v[23:24], v[11:12]
	v_add_f64 v[17:18], v[31:32], -v[19:20]
	v_add_f64 v[19:20], v[37:38], -v[33:34]
	;; [unrolled: 1-line block ×4, first 2 shown]
	v_mul_f64 v[37:38], v[29:30], s[16:17]
	v_add_f64 v[33:34], v[23:24], -v[11:12]
	v_add_f64 v[11:12], v[11:12], -v[7:8]
	v_add_f64 v[15:16], v[15:16], v[7:8]
	v_add_f64 v[7:8], v[7:8], -v[23:24]
	v_add_f64 v[23:24], v[25:26], -v[13:14]
	;; [unrolled: 1-line block ×3, first 2 shown]
	v_add_f64 v[35:36], v[35:36], v[9:10]
	v_add_f64 v[9:10], v[9:10], -v[25:26]
	v_mul_f64 v[17:18], v[17:18], s[22:23]
	v_fma_f64 v[25:26], v[27:28], s[18:19], -v[37:38]
	v_mul_f64 v[37:38], v[31:32], s[16:17]
	v_mul_f64 v[21:22], v[21:22], s[22:23]
	s_mov_b32 s21, 0xbfe77f67
	s_mov_b32 s20, s18
	;; [unrolled: 1-line block ×4, first 2 shown]
	v_fma_f64 v[27:28], v[27:28], s[20:21], -v[17:18]
	v_mul_f64 v[23:24], v[23:24], s[30:31]
	v_fma_f64 v[17:18], v[29:30], s[16:17], v[17:18]
	v_fma_f64 v[29:30], v[19:20], s[18:19], -v[37:38]
	v_fma_f64 v[19:20], v[19:20], s[20:21], -v[21:22]
	v_fma_f64 v[21:22], v[31:32], s[16:17], v[21:22]
	v_mul_f64 v[31:32], v[13:14], s[24:25]
	v_mul_f64 v[33:34], v[33:34], s[30:31]
	;; [unrolled: 1-line block ×3, first 2 shown]
	s_mov_b32 s26, 0xb247c609
	s_mov_b32 s34, 0xaaaaaaaa
	;; [unrolled: 1-line block ×6, first 2 shown]
	v_fma_f64 v[13:14], v[13:14], s[24:25], -v[23:24]
	v_fma_f64 v[39:40], v[39:40], s[34:35], v[3:4]
	v_fma_f64 v[31:32], v[9:10], s[28:29], -v[31:32]
	v_fma_f64 v[41:42], v[41:42], s[34:35], v[5:6]
	v_fma_f64 v[9:10], v[9:10], s[26:27], v[23:24]
	v_fma_f64 v[23:24], v[7:8], s[28:29], -v[37:38]
	v_fma_f64 v[7:8], v[7:8], s[26:27], v[33:34]
	v_fma_f64 v[11:12], v[11:12], s[24:25], -v[33:34]
	s_mov_b32 s36, 0x37c3f68c
	s_mov_b32 s37, 0xbfdc38aa
	v_add_f64 v[25:26], v[25:26], v[39:40]
	v_add_f64 v[27:28], v[27:28], v[39:40]
	;; [unrolled: 1-line block ×3, first 2 shown]
	v_fma_f64 v[13:14], v[35:36], s[36:37], v[13:14]
	v_add_f64 v[37:38], v[19:20], v[41:42]
	v_add_f64 v[39:40], v[21:22], v[41:42]
	v_fma_f64 v[19:20], v[35:36], s[36:37], v[31:32]
	v_fma_f64 v[31:32], v[35:36], s[36:37], v[9:10]
	;; [unrolled: 1-line block ×3, first 2 shown]
	v_add_f64 v[17:18], v[29:30], v[41:42]
	v_fma_f64 v[29:30], v[15:16], s[36:37], v[11:12]
	v_fma_f64 v[21:22], v[15:16], s[36:37], v[23:24]
	v_add_f64 v[7:8], v[25:26], -v[13:14]
	v_add_f64 v[11:12], v[25:26], v[13:14]
	v_add_f64 v[15:16], v[27:28], v[19:20]
	;; [unrolled: 1-line block ×3, first 2 shown]
	v_add_f64 v[25:26], v[39:40], -v[35:36]
	v_add_f64 v[19:20], v[27:28], -v[19:20]
	v_add_f64 v[9:10], v[29:30], v[17:18]
	v_add_f64 v[13:14], v[17:18], -v[29:30]
	v_add_f64 v[17:18], v[37:38], -v[21:22]
	v_add_f64 v[21:22], v[21:22], v[37:38]
	v_add_f64 v[27:28], v[33:34], -v[31:32]
	v_add_f64 v[29:30], v[35:36], v[39:40]
	s_movk_i32 s3, 0x60
	v_mad_u32_u24 v31, v43, s3, v1
	s_barrier
	ds_write_b128 v31, v[3:6]
	ds_write_b128 v31, v[23:26] offset:16
	ds_write_b128 v31, v[15:18] offset:32
	;; [unrolled: 1-line block ×6, first 2 shown]
	v_mul_u32_u24_e32 v3, 6, v43
	v_lshlrev_b32_e32 v27, 4, v3
	s_waitcnt lgkmcnt(0)
	s_barrier
	global_load_dwordx4 v[3:6], v27, s[8:9]
	global_load_dwordx4 v[7:10], v27, s[8:9] offset:16
	global_load_dwordx4 v[11:14], v27, s[8:9] offset:32
	;; [unrolled: 1-line block ×5, first 2 shown]
	ds_read_b128 v[27:30], v1 offset:112
	ds_read_b128 v[31:34], v2
	ds_read_b128 v[35:38], v1 offset:224
	s_mul_i32 s3, s13, s1
	s_mul_hi_u32 s8, s12, s1
	s_mul_i32 s38, s38, s14
	s_add_i32 s8, s8, s3
	s_mul_i32 s3, s12, s1
	s_add_u32 s3, s3, s38
	s_addc_u32 s9, s8, 0
	s_mul_i32 s8, s11, s33
	s_mul_hi_u32 s11, s10, s33
	s_add_i32 s11, s11, s8
	s_mul_i32 s8, s10, s33
	s_add_u32 s8, s3, s8
	s_mov_b32 s3, 0x924924a
	s_addc_u32 s9, s9, s11
	s_andn2_b64 vcc, exec, s[6:7]
	s_waitcnt vmcnt(5) lgkmcnt(2)
	v_mul_f64 v[39:40], v[29:30], v[5:6]
	v_mul_f64 v[5:6], v[27:28], v[5:6]
	v_fma_f64 v[27:28], v[27:28], v[3:4], v[39:40]
	v_fma_f64 v[29:30], v[29:30], v[3:4], -v[5:6]
	ds_read_b128 v[2:5], v1 offset:336
	s_waitcnt vmcnt(4) lgkmcnt(1)
	v_mul_f64 v[39:40], v[37:38], v[9:10]
	v_mul_f64 v[9:10], v[35:36], v[9:10]
	s_waitcnt vmcnt(3) lgkmcnt(0)
	v_mul_f64 v[41:42], v[4:5], v[13:14]
	v_mul_f64 v[13:14], v[2:3], v[13:14]
	v_fma_f64 v[35:36], v[35:36], v[7:8], v[39:40]
	v_fma_f64 v[37:38], v[37:38], v[7:8], -v[9:10]
	ds_read_b128 v[6:9], v1 offset:560
	v_fma_f64 v[39:40], v[2:3], v[11:12], v[41:42]
	v_fma_f64 v[10:11], v[4:5], v[11:12], -v[13:14]
	ds_read_b128 v[2:5], v1 offset:672
	s_waitcnt vmcnt(2) lgkmcnt(1)
	v_mul_f64 v[12:13], v[8:9], v[17:18]
	v_mul_f64 v[17:18], v[6:7], v[17:18]
	v_fma_f64 v[12:13], v[6:7], v[15:16], v[12:13]
	v_fma_f64 v[14:15], v[8:9], v[15:16], -v[17:18]
	ds_read_b128 v[6:9], v1 offset:448
	s_waitcnt vmcnt(1) lgkmcnt(1)
	v_mul_f64 v[16:17], v[4:5], v[21:22]
	v_mul_f64 v[21:22], v[2:3], v[21:22]
	s_waitcnt vmcnt(0) lgkmcnt(0)
	s_barrier
	v_mul_f64 v[41:42], v[8:9], v[25:26]
	v_fma_f64 v[2:3], v[2:3], v[19:20], v[16:17]
	v_fma_f64 v[4:5], v[4:5], v[19:20], -v[21:22]
	v_mul_f64 v[16:17], v[6:7], v[25:26]
	v_add_f64 v[20:21], v[35:36], v[12:13]
	v_fma_f64 v[6:7], v[6:7], v[23:24], v[41:42]
	v_add_f64 v[12:13], v[35:36], -v[12:13]
	v_add_f64 v[18:19], v[27:28], v[2:3]
	v_add_f64 v[26:27], v[27:28], -v[2:3]
	v_fma_f64 v[8:9], v[8:9], v[23:24], -v[16:17]
	v_add_f64 v[16:17], v[29:30], v[4:5]
	v_add_f64 v[22:23], v[37:38], v[14:15]
	;; [unrolled: 1-line block ×3, first 2 shown]
	v_add_f64 v[6:7], v[6:7], -v[39:40]
	v_add_f64 v[14:15], v[37:38], -v[14:15]
	v_add_f64 v[41:42], v[20:21], v[18:19]
	v_add_f64 v[43:44], v[10:11], v[8:9]
	v_add_f64 v[8:9], v[8:9], -v[10:11]
	v_add_f64 v[2:3], v[22:23], v[16:17]
	v_add_f64 v[10:11], v[29:30], -v[4:5]
	v_add_f64 v[28:29], v[20:21], -v[18:19]
	v_add_f64 v[20:21], v[24:25], -v[20:21]
	v_add_f64 v[41:42], v[24:25], v[41:42]
	v_add_f64 v[18:19], v[18:19], -v[24:25]
	v_add_f64 v[24:25], v[22:23], -v[16:17]
	;; [unrolled: 4-line block ×3, first 2 shown]
	v_add_f64 v[2:3], v[31:32], v[41:42]
	v_add_f64 v[30:31], v[6:7], v[12:13]
	v_mul_f64 v[18:19], v[18:19], s[22:23]
	v_mul_f64 v[38:39], v[22:23], s[16:17]
	v_add_f64 v[4:5], v[33:34], v[45:46]
	v_add_f64 v[32:33], v[6:7], -v[12:13]
	v_add_f64 v[34:35], v[8:9], v[14:15]
	v_add_f64 v[12:13], v[12:13], -v[26:27]
	v_add_f64 v[6:7], v[26:27], -v[6:7]
	v_add_f64 v[30:31], v[30:31], v[26:27]
	v_mul_f64 v[26:27], v[20:21], s[16:17]
	v_add_f64 v[14:15], v[14:15], -v[10:11]
	v_mul_f64 v[16:17], v[16:17], s[22:23]
	v_add_f64 v[8:9], v[10:11], -v[8:9]
	v_add_f64 v[34:35], v[34:35], v[10:11]
	v_mul_f64 v[32:33], v[32:33], s[30:31]
	v_fma_f64 v[10:11], v[28:29], s[18:19], -v[26:27]
	v_fma_f64 v[26:27], v[28:29], s[20:21], -v[18:19]
	v_fma_f64 v[18:19], v[20:21], s[16:17], v[18:19]
	v_mul_f64 v[20:21], v[36:37], s[30:31]
	v_mul_f64 v[28:29], v[14:15], s[24:25]
	v_fma_f64 v[36:37], v[24:25], s[18:19], -v[38:39]
	v_mul_f64 v[38:39], v[12:13], s[24:25]
	v_fma_f64 v[24:25], v[24:25], s[20:21], -v[16:17]
	v_fma_f64 v[16:17], v[22:23], s[16:17], v[16:17]
	v_fma_f64 v[22:23], v[41:42], s[34:35], v[2:3]
	v_fma_f64 v[12:13], v[12:13], s[24:25], -v[32:33]
	v_fma_f64 v[14:15], v[14:15], s[24:25], -v[20:21]
	;; [unrolled: 1-line block ×3, first 2 shown]
	v_fma_f64 v[8:9], v[8:9], s[26:27], v[20:21]
	v_fma_f64 v[20:21], v[45:46], s[34:35], v[4:5]
	v_fma_f64 v[38:39], v[6:7], s[28:29], -v[38:39]
	v_fma_f64 v[32:33], v[6:7], s[26:27], v[32:33]
	v_add_f64 v[10:11], v[10:11], v[22:23]
	v_add_f64 v[40:41], v[18:19], v[22:23]
	v_fma_f64 v[14:15], v[34:35], s[36:37], v[14:15]
	v_fma_f64 v[12:13], v[30:31], s[36:37], v[12:13]
	v_add_f64 v[26:27], v[26:27], v[22:23]
	v_add_f64 v[18:19], v[36:37], v[20:21]
	v_fma_f64 v[22:23], v[34:35], s[36:37], v[28:29]
	v_fma_f64 v[28:29], v[30:31], s[36:37], v[38:39]
	v_add_f64 v[38:39], v[16:17], v[20:21]
	v_fma_f64 v[34:35], v[34:35], s[36:37], v[8:9]
	v_fma_f64 v[30:31], v[30:31], s[36:37], v[32:33]
	v_add_f64 v[36:37], v[24:25], v[20:21]
	v_add_f64 v[6:7], v[10:11], -v[14:15]
	v_add_f64 v[8:9], v[12:13], v[18:19]
	v_add_f64 v[10:11], v[14:15], v[10:11]
	v_add_f64 v[12:13], v[18:19], -v[12:13]
	v_add_f64 v[14:15], v[22:23], v[26:27]
	v_add_f64 v[18:19], v[26:27], -v[22:23]
	;; [unrolled: 2-line block ×3, first 2 shown]
	v_add_f64 v[16:17], v[36:37], -v[28:29]
	v_add_f64 v[20:21], v[28:29], v[36:37]
	v_add_f64 v[26:27], v[40:41], -v[34:35]
	v_add_f64 v[28:29], v[30:31], v[38:39]
	ds_write_b128 v1, v[2:5]
	ds_write_b128 v1, v[22:25] offset:112
	ds_write_b128 v1, v[14:17] offset:224
	ds_write_b128 v1, v[6:9] offset:336
	ds_write_b128 v1, v[10:13] offset:448
	ds_write_b128 v1, v[18:21] offset:560
	ds_write_b128 v1, v[26:29] offset:672
	v_mul_hi_u32 v9, v0, s3
	s_waitcnt lgkmcnt(0)
	s_barrier
	v_mul_u32_u24_e32 v1, 28, v9
	v_sub_u32_e32 v10, v0, v1
	s_cbranch_vccnz .LBB0_11
; %bb.8:
	v_mad_u64_u32 v[2:3], s[6:7], s12, v10, 0
	v_mul_lo_u32 v5, v9, s2
	v_mov_b32_e32 v6, 0
	v_mov_b32_e32 v1, v3
	v_mad_u64_u32 v[3:4], s[6:7], s13, v10, v[1:2]
	s_lshl_b64 s[6:7], s[8:9], 4
	v_mul_i32_i24_e32 v1, 0x320, v10
	v_lshlrev_b32_e32 v4, 4, v9
	s_add_u32 s3, s4, s6
	v_lshlrev_b64 v[2:3], 4, v[2:3]
	v_add3_u32 v1, 0, v1, v4
	s_addc_u32 s6, s5, s7
	ds_read_b128 v[13:16], v1
	ds_read_b128 v[17:20], v1 offset:112
	v_mov_b32_e32 v4, s6
	v_add_co_u32_e32 v11, vcc, s3, v2
	v_addc_co_u32_e32 v12, vcc, v4, v3, vcc
	v_lshlrev_b64 v[2:3], 4, v[5:6]
	s_mul_i32 s3, s2, 7
	v_add_co_u32_e32 v2, vcc, v11, v2
	v_addc_co_u32_e32 v3, vcc, v12, v3, vcc
	v_add_u32_e32 v5, s3, v5
	s_waitcnt lgkmcnt(1)
	global_store_dwordx4 v[2:3], v[13:16], off
	v_lshlrev_b64 v[2:3], 4, v[5:6]
	v_add_u32_e32 v5, s3, v5
	v_add_co_u32_e32 v2, vcc, v11, v2
	v_addc_co_u32_e32 v3, vcc, v12, v3, vcc
	ds_read_b128 v[13:16], v1 offset:224
	s_waitcnt lgkmcnt(1)
	global_store_dwordx4 v[2:3], v[17:20], off
	ds_read_b128 v[17:20], v1 offset:336
	v_lshlrev_b64 v[2:3], 4, v[5:6]
	v_add_u32_e32 v5, s3, v5
	v_add_co_u32_e32 v2, vcc, v11, v2
	v_addc_co_u32_e32 v3, vcc, v12, v3, vcc
	s_waitcnt lgkmcnt(1)
	global_store_dwordx4 v[2:3], v[13:16], off
	v_lshlrev_b64 v[2:3], 4, v[5:6]
	v_add_u32_e32 v5, s3, v5
	v_add_co_u32_e32 v2, vcc, v11, v2
	v_addc_co_u32_e32 v3, vcc, v12, v3, vcc
	ds_read_b128 v[13:16], v1 offset:448
	s_waitcnt lgkmcnt(1)
	global_store_dwordx4 v[2:3], v[17:20], off
	ds_read_b128 v[17:20], v1 offset:560
	v_lshlrev_b64 v[2:3], 4, v[5:6]
	v_add_u32_e32 v5, s3, v5
	v_add_co_u32_e32 v2, vcc, v11, v2
	v_addc_co_u32_e32 v3, vcc, v12, v3, vcc
	s_waitcnt lgkmcnt(1)
	global_store_dwordx4 v[2:3], v[13:16], off
	v_lshlrev_b64 v[2:3], 4, v[5:6]
	v_add_u32_e32 v5, s3, v5
	v_add_co_u32_e32 v2, vcc, v11, v2
	v_addc_co_u32_e32 v3, vcc, v12, v3, vcc
	s_waitcnt lgkmcnt(0)
	global_store_dwordx4 v[2:3], v[17:20], off
	ds_read_b128 v[13:16], v1 offset:672
	v_lshlrev_b64 v[2:3], 4, v[5:6]
	s_mov_b64 s[10:11], 0
	v_add_co_u32_e32 v2, vcc, v11, v2
	v_addc_co_u32_e32 v3, vcc, v12, v3, vcc
	v_cmp_gt_u32_e32 vcc, 28, v0
	s_mov_b64 s[6:7], 0
	s_waitcnt lgkmcnt(0)
	global_store_dwordx4 v[2:3], v[13:16], off
                                        ; implicit-def: $vgpr3_vgpr4
                                        ; implicit-def: $vgpr7_vgpr8
	s_and_saveexec_b64 s[14:15], vcc
	s_cbranch_execz .LBB0_10
; %bb.9:
	v_add_u32_e32 v5, s3, v5
	ds_read_b128 v[1:4], v1 offset:784
	v_lshlrev_b64 v[5:6], 4, v[5:6]
	s_mov_b64 s[6:7], exec
	v_add_co_u32_e32 v7, vcc, v11, v5
	v_addc_co_u32_e32 v8, vcc, v12, v6, vcc
	s_waitcnt lgkmcnt(0)
	global_store_dwordx2 v[7:8], v[1:2], off
.LBB0_10:
	s_or_b64 exec, exec, s[14:15]
	s_and_b64 vcc, exec, s[10:11]
	s_cbranch_vccnz .LBB0_12
	s_branch .LBB0_17
.LBB0_11:
	s_mov_b64 s[6:7], 0
                                        ; implicit-def: $vgpr3_vgpr4
                                        ; implicit-def: $vgpr7_vgpr8
	s_cbranch_execz .LBB0_17
.LBB0_12:
	v_add_u32_e32 v1, s1, v10
	v_cmp_gt_u32_e32 vcc, s0, v1
                                        ; implicit-def: $vgpr3_vgpr4
                                        ; implicit-def: $vgpr7_vgpr8
	s_and_saveexec_b64 s[10:11], vcc
	s_cbranch_execz .LBB0_16
; %bb.13:
	v_mad_u64_u32 v[2:3], s[14:15], s12, v10, 0
	v_mul_lo_u32 v5, v9, s2
	s_movk_i32 s1, 0x320
	v_mov_b32_e32 v1, v3
	v_mad_u64_u32 v[3:4], s[12:13], s13, v10, v[1:2]
	s_lshl_b64 s[8:9], s[8:9], 4
	v_mad_i32_i24 v1, v10, s1, 0
	s_add_u32 s1, s4, s8
	v_lshlrev_b64 v[2:3], 4, v[2:3]
	v_lshl_add_u32 v4, v9, 4, v1
	s_addc_u32 s3, s5, s9
	v_mov_b32_e32 v6, 0
	ds_read_b128 v[11:14], v4
	ds_read_b128 v[15:18], v4 offset:112
	v_mov_b32_e32 v7, s3
	v_add_co_u32_e32 v9, vcc, s1, v2
	v_addc_co_u32_e32 v10, vcc, v7, v3, vcc
	v_lshlrev_b64 v[2:3], 4, v[5:6]
	s_mul_i32 s4, s2, 7
	v_add_co_u32_e32 v2, vcc, v9, v2
	v_addc_co_u32_e32 v3, vcc, v10, v3, vcc
	v_add_u32_e32 v5, s4, v5
	s_waitcnt lgkmcnt(1)
	global_store_dwordx4 v[2:3], v[11:14], off
	v_lshlrev_b64 v[2:3], 4, v[5:6]
	v_add_u32_e32 v5, s4, v5
	v_add_co_u32_e32 v2, vcc, v9, v2
	v_addc_co_u32_e32 v3, vcc, v10, v3, vcc
	ds_read_b128 v[11:14], v4 offset:224
	s_waitcnt lgkmcnt(1)
	global_store_dwordx4 v[2:3], v[15:18], off
	ds_read_b128 v[15:18], v4 offset:336
	v_lshlrev_b64 v[2:3], 4, v[5:6]
	v_add_u32_e32 v5, s4, v5
	v_add_co_u32_e32 v2, vcc, v9, v2
	v_addc_co_u32_e32 v3, vcc, v10, v3, vcc
	s_waitcnt lgkmcnt(1)
	global_store_dwordx4 v[2:3], v[11:14], off
	v_lshlrev_b64 v[2:3], 4, v[5:6]
	v_add_u32_e32 v5, s4, v5
	v_add_co_u32_e32 v2, vcc, v9, v2
	v_addc_co_u32_e32 v3, vcc, v10, v3, vcc
	ds_read_b128 v[11:14], v4 offset:448
	s_waitcnt lgkmcnt(1)
	global_store_dwordx4 v[2:3], v[15:18], off
	ds_read_b128 v[15:18], v4 offset:560
	v_lshlrev_b64 v[2:3], 4, v[5:6]
	v_add_u32_e32 v5, s4, v5
	v_add_co_u32_e32 v2, vcc, v9, v2
	v_addc_co_u32_e32 v3, vcc, v10, v3, vcc
	s_waitcnt lgkmcnt(1)
	global_store_dwordx4 v[2:3], v[11:14], off
	v_lshlrev_b64 v[2:3], 4, v[5:6]
	v_add_u32_e32 v5, s4, v5
	v_add_co_u32_e32 v2, vcc, v9, v2
	v_addc_co_u32_e32 v3, vcc, v10, v3, vcc
	s_waitcnt lgkmcnt(0)
	global_store_dwordx4 v[2:3], v[15:18], off
	ds_read_b128 v[11:14], v4 offset:672
	v_lshlrev_b64 v[2:3], 4, v[5:6]
	s_lshr_b32 s1, s0, 2
	s_mul_hi_u32 s1, s1, 0x24924925
	v_add_co_u32_e32 v2, vcc, v9, v2
	s_mul_i32 s1, s1, 28
	v_addc_co_u32_e32 v3, vcc, v10, v3, vcc
	s_sub_i32 s0, s0, s1
	v_cmp_gt_u32_e32 vcc, s0, v0
	s_mov_b64 s[2:3], s[6:7]
	s_waitcnt lgkmcnt(0)
	global_store_dwordx4 v[2:3], v[11:14], off
                                        ; implicit-def: $vgpr3_vgpr4
                                        ; implicit-def: $vgpr7_vgpr8
	s_and_saveexec_b64 s[0:1], vcc
	s_cbranch_execz .LBB0_15
; %bb.14:
	v_add_u32_e32 v5, s4, v5
	ds_read_b128 v[1:4], v1 offset:784
	v_lshlrev_b64 v[5:6], 4, v[5:6]
	s_or_b64 s[2:3], s[6:7], exec
	v_add_co_u32_e32 v7, vcc, v9, v5
	v_addc_co_u32_e32 v8, vcc, v10, v6, vcc
	s_waitcnt lgkmcnt(0)
	global_store_dwordx2 v[7:8], v[1:2], off
.LBB0_15:
	s_or_b64 exec, exec, s[0:1]
	s_andn2_b64 s[0:1], s[6:7], exec
	s_and_b64 s[2:3], s[2:3], exec
	s_or_b64 s[6:7], s[0:1], s[2:3]
.LBB0_16:
	s_or_b64 exec, exec, s[10:11]
.LBB0_17:
	s_and_saveexec_b64 s[0:1], s[6:7]
	s_cbranch_execnz .LBB0_19
; %bb.18:
	s_endpgm
.LBB0_19:
	global_store_dwordx2 v[7:8], v[3:4], off offset:8
	s_endpgm
	.section	.rodata,"a",@progbits
	.p2align	6, 0x0
	.amdhsa_kernel fft_rtc_back_len49_factors_7_7_wgs_196_tpt_7_dp_op_CI_CI_sbrc_erc_z_xy_unaligned_dirReg
		.amdhsa_group_segment_fixed_size 0
		.amdhsa_private_segment_fixed_size 0
		.amdhsa_kernarg_size 104
		.amdhsa_user_sgpr_count 6
		.amdhsa_user_sgpr_private_segment_buffer 1
		.amdhsa_user_sgpr_dispatch_ptr 0
		.amdhsa_user_sgpr_queue_ptr 0
		.amdhsa_user_sgpr_kernarg_segment_ptr 1
		.amdhsa_user_sgpr_dispatch_id 0
		.amdhsa_user_sgpr_flat_scratch_init 0
		.amdhsa_user_sgpr_private_segment_size 0
		.amdhsa_uses_dynamic_stack 0
		.amdhsa_system_sgpr_private_segment_wavefront_offset 0
		.amdhsa_system_sgpr_workgroup_id_x 1
		.amdhsa_system_sgpr_workgroup_id_y 0
		.amdhsa_system_sgpr_workgroup_id_z 0
		.amdhsa_system_sgpr_workgroup_info 0
		.amdhsa_system_vgpr_workitem_id 0
		.amdhsa_next_free_vgpr 47
		.amdhsa_next_free_sgpr 39
		.amdhsa_reserve_vcc 1
		.amdhsa_reserve_flat_scratch 0
		.amdhsa_float_round_mode_32 0
		.amdhsa_float_round_mode_16_64 0
		.amdhsa_float_denorm_mode_32 3
		.amdhsa_float_denorm_mode_16_64 3
		.amdhsa_dx10_clamp 1
		.amdhsa_ieee_mode 1
		.amdhsa_fp16_overflow 0
		.amdhsa_exception_fp_ieee_invalid_op 0
		.amdhsa_exception_fp_denorm_src 0
		.amdhsa_exception_fp_ieee_div_zero 0
		.amdhsa_exception_fp_ieee_overflow 0
		.amdhsa_exception_fp_ieee_underflow 0
		.amdhsa_exception_fp_ieee_inexact 0
		.amdhsa_exception_int_div_zero 0
	.end_amdhsa_kernel
	.text
.Lfunc_end0:
	.size	fft_rtc_back_len49_factors_7_7_wgs_196_tpt_7_dp_op_CI_CI_sbrc_erc_z_xy_unaligned_dirReg, .Lfunc_end0-fft_rtc_back_len49_factors_7_7_wgs_196_tpt_7_dp_op_CI_CI_sbrc_erc_z_xy_unaligned_dirReg
                                        ; -- End function
	.section	.AMDGPU.csdata,"",@progbits
; Kernel info:
; codeLenInByte = 4132
; NumSgprs: 43
; NumVgprs: 47
; ScratchSize: 0
; MemoryBound: 0
; FloatMode: 240
; IeeeMode: 1
; LDSByteSize: 0 bytes/workgroup (compile time only)
; SGPRBlocks: 5
; VGPRBlocks: 11
; NumSGPRsForWavesPerEU: 43
; NumVGPRsForWavesPerEU: 47
; Occupancy: 5
; WaveLimiterHint : 1
; COMPUTE_PGM_RSRC2:SCRATCH_EN: 0
; COMPUTE_PGM_RSRC2:USER_SGPR: 6
; COMPUTE_PGM_RSRC2:TRAP_HANDLER: 0
; COMPUTE_PGM_RSRC2:TGID_X_EN: 1
; COMPUTE_PGM_RSRC2:TGID_Y_EN: 0
; COMPUTE_PGM_RSRC2:TGID_Z_EN: 0
; COMPUTE_PGM_RSRC2:TIDIG_COMP_CNT: 0
	.type	__hip_cuid_d18bca405ad5bdf4,@object ; @__hip_cuid_d18bca405ad5bdf4
	.section	.bss,"aw",@nobits
	.globl	__hip_cuid_d18bca405ad5bdf4
__hip_cuid_d18bca405ad5bdf4:
	.byte	0                               ; 0x0
	.size	__hip_cuid_d18bca405ad5bdf4, 1

	.ident	"AMD clang version 19.0.0git (https://github.com/RadeonOpenCompute/llvm-project roc-6.4.0 25133 c7fe45cf4b819c5991fe208aaa96edf142730f1d)"
	.section	".note.GNU-stack","",@progbits
	.addrsig
	.addrsig_sym __hip_cuid_d18bca405ad5bdf4
	.amdgpu_metadata
---
amdhsa.kernels:
  - .args:
      - .actual_access:  read_only
        .address_space:  global
        .offset:         0
        .size:           8
        .value_kind:     global_buffer
      - .offset:         8
        .size:           8
        .value_kind:     by_value
      - .actual_access:  read_only
        .address_space:  global
        .offset:         16
        .size:           8
        .value_kind:     global_buffer
      - .actual_access:  read_only
        .address_space:  global
        .offset:         24
        .size:           8
        .value_kind:     global_buffer
      - .actual_access:  read_only
        .address_space:  global
        .offset:         32
        .size:           8
        .value_kind:     global_buffer
      - .offset:         40
        .size:           8
        .value_kind:     by_value
      - .actual_access:  read_only
        .address_space:  global
        .offset:         48
        .size:           8
        .value_kind:     global_buffer
      - .actual_access:  read_only
        .address_space:  global
        .offset:         56
        .size:           8
        .value_kind:     global_buffer
      - .offset:         64
        .size:           4
        .value_kind:     by_value
      - .actual_access:  read_only
        .address_space:  global
        .offset:         72
        .size:           8
        .value_kind:     global_buffer
      - .actual_access:  read_only
        .address_space:  global
        .offset:         80
        .size:           8
        .value_kind:     global_buffer
      - .actual_access:  read_only
        .address_space:  global
        .offset:         88
        .size:           8
        .value_kind:     global_buffer
      - .actual_access:  write_only
        .address_space:  global
        .offset:         96
        .size:           8
        .value_kind:     global_buffer
    .group_segment_fixed_size: 0
    .kernarg_segment_align: 8
    .kernarg_segment_size: 104
    .language:       OpenCL C
    .language_version:
      - 2
      - 0
    .max_flat_workgroup_size: 196
    .name:           fft_rtc_back_len49_factors_7_7_wgs_196_tpt_7_dp_op_CI_CI_sbrc_erc_z_xy_unaligned_dirReg
    .private_segment_fixed_size: 0
    .sgpr_count:     43
    .sgpr_spill_count: 0
    .symbol:         fft_rtc_back_len49_factors_7_7_wgs_196_tpt_7_dp_op_CI_CI_sbrc_erc_z_xy_unaligned_dirReg.kd
    .uniform_work_group_size: 1
    .uses_dynamic_stack: false
    .vgpr_count:     47
    .vgpr_spill_count: 0
    .wavefront_size: 64
amdhsa.target:   amdgcn-amd-amdhsa--gfx906
amdhsa.version:
  - 1
  - 2
...

	.end_amdgpu_metadata
